;; amdgpu-corpus repo=ROCm/rocSPARSE kind=compiled arch=gfx1100 opt=O3
	.text
	.amdgcn_target "amdgcn-amd-amdhsa--gfx1100"
	.amdhsa_code_object_version 6
	.section	.text._ZN9rocsparseL22ell_width_kernel_part1ILj512EiiEEvT1_PKT0_PS1_,"axG",@progbits,_ZN9rocsparseL22ell_width_kernel_part1ILj512EiiEEvT1_PKT0_PS1_,comdat
	.globl	_ZN9rocsparseL22ell_width_kernel_part1ILj512EiiEEvT1_PKT0_PS1_ ; -- Begin function _ZN9rocsparseL22ell_width_kernel_part1ILj512EiiEEvT1_PKT0_PS1_
	.p2align	8
	.type	_ZN9rocsparseL22ell_width_kernel_part1ILj512EiiEEvT1_PKT0_PS1_,@function
_ZN9rocsparseL22ell_width_kernel_part1ILj512EiiEEvT1_PKT0_PS1_: ; @_ZN9rocsparseL22ell_width_kernel_part1ILj512EiiEEvT1_PKT0_PS1_
; %bb.0:
	s_clause 0x1
	s_load_b32 s3, s[0:1], 0x0
	s_load_b128 s[4:7], s[0:1], 0x8
	s_mov_b32 s2, s15
	v_dual_mov_b32 v2, 0 :: v_dual_lshlrev_b32 v3, 2, v0
	v_lshl_or_b32 v1, s2, 9, v0
	s_mov_b32 s8, exec_lo
	ds_store_b32 v3, v2
	s_waitcnt lgkmcnt(0)
	v_cmpx_gt_u32_e64 s3, v1
	s_cbranch_execz .LBB0_4
; %bb.1:
	s_load_b32 s0, s[0:1], 0x18
	v_mov_b32_e32 v4, v2
	s_waitcnt lgkmcnt(0)
	s_lshl_b32 s1, s0, 9
	s_mov_b32 s0, 0
.LBB0_2:                                ; =>This Inner Loop Header: Depth=1
	v_lshlrev_b64 v[5:6], 2, v[1:2]
	v_add_nc_u32_e32 v1, s1, v1
	s_delay_alu instid0(VALU_DEP_2) | instskip(NEXT) | instid1(VALU_DEP_3)
	v_add_co_u32 v5, vcc_lo, s4, v5
	v_add_co_ci_u32_e32 v6, vcc_lo, s5, v6, vcc_lo
	s_delay_alu instid0(VALU_DEP_3) | instskip(SKIP_4) | instid1(VALU_DEP_1)
	v_cmp_le_u32_e32 vcc_lo, s3, v1
	global_load_b64 v[5:6], v[5:6], off
	s_or_b32 s0, vcc_lo, s0
	s_waitcnt vmcnt(0)
	v_sub_nc_u32_e32 v5, v6, v5
	v_max_i32_e32 v4, v4, v5
	s_and_not1_b32 exec_lo, exec_lo, s0
	s_cbranch_execnz .LBB0_2
; %bb.3:
	s_or_b32 exec_lo, exec_lo, s0
	ds_store_b32 v3, v4
.LBB0_4:
	s_or_b32 exec_lo, exec_lo, s8
	s_delay_alu instid0(SALU_CYCLE_1)
	s_mov_b32 s0, exec_lo
	s_waitcnt lgkmcnt(0)
	s_barrier
	buffer_gl0_inv
	v_cmpx_gt_u32_e32 0x100, v0
	s_cbranch_execz .LBB0_6
; %bb.5:
	ds_load_2addr_stride64_b32 v[1:2], v3 offset1:4
	s_waitcnt lgkmcnt(0)
	v_max_i32_e32 v1, v1, v2
	ds_store_b32 v3, v1
.LBB0_6:
	s_or_b32 exec_lo, exec_lo, s0
	s_delay_alu instid0(SALU_CYCLE_1)
	s_mov_b32 s0, exec_lo
	s_waitcnt lgkmcnt(0)
	s_barrier
	buffer_gl0_inv
	v_cmpx_gt_u32_e32 0x80, v0
	s_cbranch_execz .LBB0_8
; %bb.7:
	ds_load_2addr_stride64_b32 v[1:2], v3 offset1:2
	s_waitcnt lgkmcnt(0)
	v_max_i32_e32 v1, v1, v2
	ds_store_b32 v3, v1
.LBB0_8:
	;; [unrolled: 14-line block ×3, first 2 shown]
	s_or_b32 exec_lo, exec_lo, s0
	s_delay_alu instid0(SALU_CYCLE_1)
	s_mov_b32 s0, exec_lo
	s_waitcnt lgkmcnt(0)
	s_barrier
	buffer_gl0_inv
	v_cmpx_gt_u32_e32 32, v0
	s_cbranch_execz .LBB0_12
; %bb.11:
	ds_load_2addr_b32 v[1:2], v3 offset1:32
	s_waitcnt lgkmcnt(0)
	v_max_i32_e32 v1, v1, v2
	ds_store_b32 v3, v1
.LBB0_12:
	s_or_b32 exec_lo, exec_lo, s0
	s_delay_alu instid0(SALU_CYCLE_1)
	s_mov_b32 s0, exec_lo
	s_waitcnt lgkmcnt(0)
	s_barrier
	buffer_gl0_inv
	v_cmpx_gt_u32_e32 16, v0
	s_cbranch_execz .LBB0_14
; %bb.13:
	ds_load_2addr_b32 v[1:2], v3 offset1:16
	s_waitcnt lgkmcnt(0)
	v_max_i32_e32 v1, v1, v2
	ds_store_b32 v3, v1
.LBB0_14:
	;; [unrolled: 14-line block ×5, first 2 shown]
	s_or_b32 exec_lo, exec_lo, s0
	v_cmp_eq_u32_e32 vcc_lo, 0, v0
	s_waitcnt lgkmcnt(0)
	s_barrier
	buffer_gl0_inv
	s_and_saveexec_b32 s0, vcc_lo
	s_cbranch_execz .LBB0_22
; %bb.21:
	v_mov_b32_e32 v2, 0
	ds_load_b64 v[0:1], v2
	s_waitcnt lgkmcnt(0)
	v_max_i32_e32 v0, v0, v1
	ds_store_b32 v2, v0
.LBB0_22:
	s_or_b32 exec_lo, exec_lo, s0
	s_waitcnt lgkmcnt(0)
	s_barrier
	buffer_gl0_inv
	s_and_saveexec_b32 s0, vcc_lo
	s_cbranch_execz .LBB0_24
; %bb.23:
	v_mov_b32_e32 v0, 0
	s_mov_b32 s3, 0
	s_delay_alu instid0(SALU_CYCLE_1) | instskip(NEXT) | instid1(SALU_CYCLE_1)
	s_lshl_b64 s[0:1], s[2:3], 2
	s_add_u32 s0, s6, s0
	ds_load_b32 v1, v0
	s_addc_u32 s1, s7, s1
	s_waitcnt lgkmcnt(0)
	global_store_b32 v0, v1, s[0:1]
.LBB0_24:
	s_nop 0
	s_sendmsg sendmsg(MSG_DEALLOC_VGPRS)
	s_endpgm
	.section	.rodata,"a",@progbits
	.p2align	6, 0x0
	.amdhsa_kernel _ZN9rocsparseL22ell_width_kernel_part1ILj512EiiEEvT1_PKT0_PS1_
		.amdhsa_group_segment_fixed_size 2048
		.amdhsa_private_segment_fixed_size 0
		.amdhsa_kernarg_size 280
		.amdhsa_user_sgpr_count 15
		.amdhsa_user_sgpr_dispatch_ptr 0
		.amdhsa_user_sgpr_queue_ptr 0
		.amdhsa_user_sgpr_kernarg_segment_ptr 1
		.amdhsa_user_sgpr_dispatch_id 0
		.amdhsa_user_sgpr_private_segment_size 0
		.amdhsa_wavefront_size32 1
		.amdhsa_uses_dynamic_stack 0
		.amdhsa_enable_private_segment 0
		.amdhsa_system_sgpr_workgroup_id_x 1
		.amdhsa_system_sgpr_workgroup_id_y 0
		.amdhsa_system_sgpr_workgroup_id_z 0
		.amdhsa_system_sgpr_workgroup_info 0
		.amdhsa_system_vgpr_workitem_id 0
		.amdhsa_next_free_vgpr 7
		.amdhsa_next_free_sgpr 16
		.amdhsa_reserve_vcc 1
		.amdhsa_float_round_mode_32 0
		.amdhsa_float_round_mode_16_64 0
		.amdhsa_float_denorm_mode_32 3
		.amdhsa_float_denorm_mode_16_64 3
		.amdhsa_dx10_clamp 1
		.amdhsa_ieee_mode 1
		.amdhsa_fp16_overflow 0
		.amdhsa_workgroup_processor_mode 1
		.amdhsa_memory_ordered 1
		.amdhsa_forward_progress 0
		.amdhsa_shared_vgpr_count 0
		.amdhsa_exception_fp_ieee_invalid_op 0
		.amdhsa_exception_fp_denorm_src 0
		.amdhsa_exception_fp_ieee_div_zero 0
		.amdhsa_exception_fp_ieee_overflow 0
		.amdhsa_exception_fp_ieee_underflow 0
		.amdhsa_exception_fp_ieee_inexact 0
		.amdhsa_exception_int_div_zero 0
	.end_amdhsa_kernel
	.section	.text._ZN9rocsparseL22ell_width_kernel_part1ILj512EiiEEvT1_PKT0_PS1_,"axG",@progbits,_ZN9rocsparseL22ell_width_kernel_part1ILj512EiiEEvT1_PKT0_PS1_,comdat
.Lfunc_end0:
	.size	_ZN9rocsparseL22ell_width_kernel_part1ILj512EiiEEvT1_PKT0_PS1_, .Lfunc_end0-_ZN9rocsparseL22ell_width_kernel_part1ILj512EiiEEvT1_PKT0_PS1_
                                        ; -- End function
	.section	.AMDGPU.csdata,"",@progbits
; Kernel info:
; codeLenInByte = 804
; NumSgprs: 18
; NumVgprs: 7
; ScratchSize: 0
; MemoryBound: 0
; FloatMode: 240
; IeeeMode: 1
; LDSByteSize: 2048 bytes/workgroup (compile time only)
; SGPRBlocks: 2
; VGPRBlocks: 0
; NumSGPRsForWavesPerEU: 18
; NumVGPRsForWavesPerEU: 7
; Occupancy: 16
; WaveLimiterHint : 0
; COMPUTE_PGM_RSRC2:SCRATCH_EN: 0
; COMPUTE_PGM_RSRC2:USER_SGPR: 15
; COMPUTE_PGM_RSRC2:TRAP_HANDLER: 0
; COMPUTE_PGM_RSRC2:TGID_X_EN: 1
; COMPUTE_PGM_RSRC2:TGID_Y_EN: 0
; COMPUTE_PGM_RSRC2:TGID_Z_EN: 0
; COMPUTE_PGM_RSRC2:TIDIG_COMP_CNT: 0
	.section	.text._ZN9rocsparseL22ell_width_kernel_part2ILj512EiEEvT0_PS1_,"axG",@progbits,_ZN9rocsparseL22ell_width_kernel_part2ILj512EiEEvT0_PS1_,comdat
	.globl	_ZN9rocsparseL22ell_width_kernel_part2ILj512EiEEvT0_PS1_ ; -- Begin function _ZN9rocsparseL22ell_width_kernel_part2ILj512EiEEvT0_PS1_
	.p2align	8
	.type	_ZN9rocsparseL22ell_width_kernel_part2ILj512EiEEvT0_PS1_,@function
_ZN9rocsparseL22ell_width_kernel_part2ILj512EiEEvT0_PS1_: ; @_ZN9rocsparseL22ell_width_kernel_part2ILj512EiEEvT0_PS1_
; %bb.0:
	s_clause 0x1
	s_load_b32 s4, s[0:1], 0x0
	s_load_b64 s[2:3], s[0:1], 0x8
	v_dual_mov_b32 v4, 0 :: v_dual_lshlrev_b32 v3, 2, v0
	s_mov_b32 s1, exec_lo
	ds_store_b32 v3, v4
	s_waitcnt lgkmcnt(0)
	v_cmpx_gt_u32_e64 s4, v0
	s_cbranch_execz .LBB1_4
; %bb.1:
	v_add_co_u32 v1, s0, s2, v3
	s_delay_alu instid0(VALU_DEP_1)
	v_add_co_ci_u32_e64 v2, null, s3, 0, s0
	v_mov_b32_e32 v5, v0
	s_mov_b32 s5, 0
.LBB1_2:                                ; =>This Inner Loop Header: Depth=1
	global_load_b32 v6, v[1:2], off
	v_add_nc_u32_e32 v5, 0x200, v5
	v_add_co_u32 v1, vcc_lo, 0x800, v1
	v_add_co_ci_u32_e32 v2, vcc_lo, 0, v2, vcc_lo
	s_delay_alu instid0(VALU_DEP_3) | instskip(NEXT) | instid1(VALU_DEP_1)
	v_cmp_le_u32_e64 s0, s4, v5
	s_or_b32 s5, s0, s5
	s_waitcnt vmcnt(0)
	v_max_i32_e32 v4, v4, v6
	s_and_not1_b32 exec_lo, exec_lo, s5
	s_cbranch_execnz .LBB1_2
; %bb.3:
	s_or_b32 exec_lo, exec_lo, s5
	ds_store_b32 v3, v4
.LBB1_4:
	s_or_b32 exec_lo, exec_lo, s1
	s_delay_alu instid0(SALU_CYCLE_1)
	s_mov_b32 s0, exec_lo
	s_waitcnt lgkmcnt(0)
	s_barrier
	buffer_gl0_inv
	v_cmpx_gt_u32_e32 0x100, v0
	s_cbranch_execz .LBB1_6
; %bb.5:
	ds_load_2addr_stride64_b32 v[1:2], v3 offset1:4
	s_waitcnt lgkmcnt(0)
	v_max_i32_e32 v1, v1, v2
	ds_store_b32 v3, v1
.LBB1_6:
	s_or_b32 exec_lo, exec_lo, s0
	s_delay_alu instid0(SALU_CYCLE_1)
	s_mov_b32 s0, exec_lo
	s_waitcnt lgkmcnt(0)
	s_barrier
	buffer_gl0_inv
	v_cmpx_gt_u32_e32 0x80, v0
	s_cbranch_execz .LBB1_8
; %bb.7:
	ds_load_2addr_stride64_b32 v[1:2], v3 offset1:2
	s_waitcnt lgkmcnt(0)
	v_max_i32_e32 v1, v1, v2
	ds_store_b32 v3, v1
.LBB1_8:
	;; [unrolled: 14-line block ×3, first 2 shown]
	s_or_b32 exec_lo, exec_lo, s0
	s_delay_alu instid0(SALU_CYCLE_1)
	s_mov_b32 s0, exec_lo
	s_waitcnt lgkmcnt(0)
	s_barrier
	buffer_gl0_inv
	v_cmpx_gt_u32_e32 32, v0
	s_cbranch_execz .LBB1_12
; %bb.11:
	ds_load_2addr_b32 v[1:2], v3 offset1:32
	s_waitcnt lgkmcnt(0)
	v_max_i32_e32 v1, v1, v2
	ds_store_b32 v3, v1
.LBB1_12:
	s_or_b32 exec_lo, exec_lo, s0
	s_delay_alu instid0(SALU_CYCLE_1)
	s_mov_b32 s0, exec_lo
	s_waitcnt lgkmcnt(0)
	s_barrier
	buffer_gl0_inv
	v_cmpx_gt_u32_e32 16, v0
	s_cbranch_execz .LBB1_14
; %bb.13:
	ds_load_2addr_b32 v[1:2], v3 offset1:16
	s_waitcnt lgkmcnt(0)
	v_max_i32_e32 v1, v1, v2
	ds_store_b32 v3, v1
.LBB1_14:
	;; [unrolled: 14-line block ×5, first 2 shown]
	s_or_b32 exec_lo, exec_lo, s0
	v_cmp_eq_u32_e32 vcc_lo, 0, v0
	s_waitcnt lgkmcnt(0)
	s_barrier
	buffer_gl0_inv
	s_and_saveexec_b32 s0, vcc_lo
	s_cbranch_execz .LBB1_22
; %bb.21:
	v_mov_b32_e32 v2, 0
	ds_load_b64 v[0:1], v2
	s_waitcnt lgkmcnt(0)
	v_max_i32_e32 v0, v0, v1
	ds_store_b32 v2, v0
.LBB1_22:
	s_or_b32 exec_lo, exec_lo, s0
	s_waitcnt lgkmcnt(0)
	s_barrier
	buffer_gl0_inv
	s_and_saveexec_b32 s0, vcc_lo
	s_cbranch_execz .LBB1_24
; %bb.23:
	v_mov_b32_e32 v0, 0
	ds_load_b32 v1, v0
	s_waitcnt lgkmcnt(0)
	global_store_b32 v0, v1, s[2:3]
.LBB1_24:
	s_nop 0
	s_sendmsg sendmsg(MSG_DEALLOC_VGPRS)
	s_endpgm
	.section	.rodata,"a",@progbits
	.p2align	6, 0x0
	.amdhsa_kernel _ZN9rocsparseL22ell_width_kernel_part2ILj512EiEEvT0_PS1_
		.amdhsa_group_segment_fixed_size 2048
		.amdhsa_private_segment_fixed_size 0
		.amdhsa_kernarg_size 16
		.amdhsa_user_sgpr_count 15
		.amdhsa_user_sgpr_dispatch_ptr 0
		.amdhsa_user_sgpr_queue_ptr 0
		.amdhsa_user_sgpr_kernarg_segment_ptr 1
		.amdhsa_user_sgpr_dispatch_id 0
		.amdhsa_user_sgpr_private_segment_size 0
		.amdhsa_wavefront_size32 1
		.amdhsa_uses_dynamic_stack 0
		.amdhsa_enable_private_segment 0
		.amdhsa_system_sgpr_workgroup_id_x 1
		.amdhsa_system_sgpr_workgroup_id_y 0
		.amdhsa_system_sgpr_workgroup_id_z 0
		.amdhsa_system_sgpr_workgroup_info 0
		.amdhsa_system_vgpr_workitem_id 0
		.amdhsa_next_free_vgpr 7
		.amdhsa_next_free_sgpr 6
		.amdhsa_reserve_vcc 1
		.amdhsa_float_round_mode_32 0
		.amdhsa_float_round_mode_16_64 0
		.amdhsa_float_denorm_mode_32 3
		.amdhsa_float_denorm_mode_16_64 3
		.amdhsa_dx10_clamp 1
		.amdhsa_ieee_mode 1
		.amdhsa_fp16_overflow 0
		.amdhsa_workgroup_processor_mode 1
		.amdhsa_memory_ordered 1
		.amdhsa_forward_progress 0
		.amdhsa_shared_vgpr_count 0
		.amdhsa_exception_fp_ieee_invalid_op 0
		.amdhsa_exception_fp_denorm_src 0
		.amdhsa_exception_fp_ieee_div_zero 0
		.amdhsa_exception_fp_ieee_overflow 0
		.amdhsa_exception_fp_ieee_underflow 0
		.amdhsa_exception_fp_ieee_inexact 0
		.amdhsa_exception_int_div_zero 0
	.end_amdhsa_kernel
	.section	.text._ZN9rocsparseL22ell_width_kernel_part2ILj512EiEEvT0_PS1_,"axG",@progbits,_ZN9rocsparseL22ell_width_kernel_part2ILj512EiEEvT0_PS1_,comdat
.Lfunc_end1:
	.size	_ZN9rocsparseL22ell_width_kernel_part2ILj512EiEEvT0_PS1_, .Lfunc_end1-_ZN9rocsparseL22ell_width_kernel_part2ILj512EiEEvT0_PS1_
                                        ; -- End function
	.section	.AMDGPU.csdata,"",@progbits
; Kernel info:
; codeLenInByte = 772
; NumSgprs: 8
; NumVgprs: 7
; ScratchSize: 0
; MemoryBound: 0
; FloatMode: 240
; IeeeMode: 1
; LDSByteSize: 2048 bytes/workgroup (compile time only)
; SGPRBlocks: 0
; VGPRBlocks: 0
; NumSGPRsForWavesPerEU: 8
; NumVGPRsForWavesPerEU: 7
; Occupancy: 16
; WaveLimiterHint : 0
; COMPUTE_PGM_RSRC2:SCRATCH_EN: 0
; COMPUTE_PGM_RSRC2:USER_SGPR: 15
; COMPUTE_PGM_RSRC2:TRAP_HANDLER: 0
; COMPUTE_PGM_RSRC2:TGID_X_EN: 1
; COMPUTE_PGM_RSRC2:TGID_Y_EN: 0
; COMPUTE_PGM_RSRC2:TGID_Z_EN: 0
; COMPUTE_PGM_RSRC2:TIDIG_COMP_CNT: 0
	.section	.text._ZN9rocsparseL11hyb_coo_nnzILj512EEEviiPKiPi21rocsparse_index_base_,"axG",@progbits,_ZN9rocsparseL11hyb_coo_nnzILj512EEEviiPKiPi21rocsparse_index_base_,comdat
	.globl	_ZN9rocsparseL11hyb_coo_nnzILj512EEEviiPKiPi21rocsparse_index_base_ ; -- Begin function _ZN9rocsparseL11hyb_coo_nnzILj512EEEviiPKiPi21rocsparse_index_base_
	.p2align	8
	.type	_ZN9rocsparseL11hyb_coo_nnzILj512EEEviiPKiPi21rocsparse_index_base_,@function
_ZN9rocsparseL11hyb_coo_nnzILj512EEEviiPKiPi21rocsparse_index_base_: ; @_ZN9rocsparseL11hyb_coo_nnzILj512EEEviiPKiPi21rocsparse_index_base_
; %bb.0:
	s_clause 0x1
	s_load_b64 s[2:3], s[0:1], 0x0
	s_load_b128 s[4:7], s[0:1], 0x8
	v_lshl_or_b32 v0, s15, 9, v0
	s_waitcnt lgkmcnt(0)
	s_delay_alu instid0(VALU_DEP_1)
	v_cmp_gt_i32_e32 vcc_lo, s2, v0
	s_and_saveexec_b32 s2, vcc_lo
	s_cbranch_execz .LBB2_2
; %bb.1:
	v_ashrrev_i32_e32 v1, 31, v0
	s_delay_alu instid0(VALU_DEP_1) | instskip(NEXT) | instid1(VALU_DEP_1)
	v_lshlrev_b64 v[1:2], 2, v[0:1]
	v_add_co_u32 v3, vcc_lo, s4, v1
	s_delay_alu instid0(VALU_DEP_2) | instskip(SKIP_3) | instid1(VALU_DEP_1)
	v_add_co_ci_u32_e32 v4, vcc_lo, s5, v2, vcc_lo
	global_load_b64 v[3:4], v[3:4], off
	s_waitcnt vmcnt(0)
	v_sub_nc_u32_e32 v3, v4, v3
	v_subrev_nc_u32_e32 v4, s3, v3
	v_cmp_lt_i32_e32 vcc_lo, s3, v3
	s_delay_alu instid0(VALU_DEP_2)
	v_cndmask_b32_e32 v3, 0, v4, vcc_lo
	v_add_co_u32 v1, vcc_lo, s6, v1
	v_add_co_ci_u32_e32 v2, vcc_lo, s7, v2, vcc_lo
	global_store_b32 v[1:2], v3, off offset:4
.LBB2_2:
	s_or_b32 exec_lo, exec_lo, s2
	s_delay_alu instid0(SALU_CYCLE_1)
	s_mov_b32 s2, exec_lo
	v_cmpx_eq_u32_e32 0, v0
	s_cbranch_execz .LBB2_4
; %bb.3:
	s_load_b32 s0, s[0:1], 0x18
	s_waitcnt lgkmcnt(0)
	v_dual_mov_b32 v0, 0 :: v_dual_mov_b32 v1, s0
	global_store_b32 v0, v1, s[6:7]
.LBB2_4:
	s_nop 0
	s_sendmsg sendmsg(MSG_DEALLOC_VGPRS)
	s_endpgm
	.section	.rodata,"a",@progbits
	.p2align	6, 0x0
	.amdhsa_kernel _ZN9rocsparseL11hyb_coo_nnzILj512EEEviiPKiPi21rocsparse_index_base_
		.amdhsa_group_segment_fixed_size 0
		.amdhsa_private_segment_fixed_size 0
		.amdhsa_kernarg_size 28
		.amdhsa_user_sgpr_count 15
		.amdhsa_user_sgpr_dispatch_ptr 0
		.amdhsa_user_sgpr_queue_ptr 0
		.amdhsa_user_sgpr_kernarg_segment_ptr 1
		.amdhsa_user_sgpr_dispatch_id 0
		.amdhsa_user_sgpr_private_segment_size 0
		.amdhsa_wavefront_size32 1
		.amdhsa_uses_dynamic_stack 0
		.amdhsa_enable_private_segment 0
		.amdhsa_system_sgpr_workgroup_id_x 1
		.amdhsa_system_sgpr_workgroup_id_y 0
		.amdhsa_system_sgpr_workgroup_id_z 0
		.amdhsa_system_sgpr_workgroup_info 0
		.amdhsa_system_vgpr_workitem_id 0
		.amdhsa_next_free_vgpr 5
		.amdhsa_next_free_sgpr 16
		.amdhsa_reserve_vcc 1
		.amdhsa_float_round_mode_32 0
		.amdhsa_float_round_mode_16_64 0
		.amdhsa_float_denorm_mode_32 3
		.amdhsa_float_denorm_mode_16_64 3
		.amdhsa_dx10_clamp 1
		.amdhsa_ieee_mode 1
		.amdhsa_fp16_overflow 0
		.amdhsa_workgroup_processor_mode 1
		.amdhsa_memory_ordered 1
		.amdhsa_forward_progress 0
		.amdhsa_shared_vgpr_count 0
		.amdhsa_exception_fp_ieee_invalid_op 0
		.amdhsa_exception_fp_denorm_src 0
		.amdhsa_exception_fp_ieee_div_zero 0
		.amdhsa_exception_fp_ieee_overflow 0
		.amdhsa_exception_fp_ieee_underflow 0
		.amdhsa_exception_fp_ieee_inexact 0
		.amdhsa_exception_int_div_zero 0
	.end_amdhsa_kernel
	.section	.text._ZN9rocsparseL11hyb_coo_nnzILj512EEEviiPKiPi21rocsparse_index_base_,"axG",@progbits,_ZN9rocsparseL11hyb_coo_nnzILj512EEEviiPKiPi21rocsparse_index_base_,comdat
.Lfunc_end2:
	.size	_ZN9rocsparseL11hyb_coo_nnzILj512EEEviiPKiPi21rocsparse_index_base_, .Lfunc_end2-_ZN9rocsparseL11hyb_coo_nnzILj512EEEviiPKiPi21rocsparse_index_base_
                                        ; -- End function
	.section	.AMDGPU.csdata,"",@progbits
; Kernel info:
; codeLenInByte = 192
; NumSgprs: 18
; NumVgprs: 5
; ScratchSize: 0
; MemoryBound: 0
; FloatMode: 240
; IeeeMode: 1
; LDSByteSize: 0 bytes/workgroup (compile time only)
; SGPRBlocks: 2
; VGPRBlocks: 0
; NumSGPRsForWavesPerEU: 18
; NumVGPRsForWavesPerEU: 5
; Occupancy: 16
; WaveLimiterHint : 0
; COMPUTE_PGM_RSRC2:SCRATCH_EN: 0
; COMPUTE_PGM_RSRC2:USER_SGPR: 15
; COMPUTE_PGM_RSRC2:TRAP_HANDLER: 0
; COMPUTE_PGM_RSRC2:TGID_X_EN: 1
; COMPUTE_PGM_RSRC2:TGID_Y_EN: 0
; COMPUTE_PGM_RSRC2:TGID_Z_EN: 0
; COMPUTE_PGM_RSRC2:TIDIG_COMP_CNT: 0
	.section	.text._ZN9rocsparseL14csr2hyb_kernelILj512EfEEviPKT0_PKiS5_iPiPS1_S6_S6_S7_S6_21rocsparse_index_base_,"axG",@progbits,_ZN9rocsparseL14csr2hyb_kernelILj512EfEEviPKT0_PKiS5_iPiPS1_S6_S6_S7_S6_21rocsparse_index_base_,comdat
	.globl	_ZN9rocsparseL14csr2hyb_kernelILj512EfEEviPKT0_PKiS5_iPiPS1_S6_S6_S7_S6_21rocsparse_index_base_ ; -- Begin function _ZN9rocsparseL14csr2hyb_kernelILj512EfEEviPKT0_PKiS5_iPiPS1_S6_S6_S7_S6_21rocsparse_index_base_
	.p2align	8
	.type	_ZN9rocsparseL14csr2hyb_kernelILj512EfEEviPKT0_PKiS5_iPiPS1_S6_S6_S7_S6_21rocsparse_index_base_,@function
_ZN9rocsparseL14csr2hyb_kernelILj512EfEEviPKT0_PKiS5_iPiPS1_S6_S6_S7_S6_21rocsparse_index_base_: ; @_ZN9rocsparseL14csr2hyb_kernelILj512EfEEviPKT0_PKiS5_iPiPS1_S6_S6_S7_S6_21rocsparse_index_base_
; %bb.0:
	s_load_b32 s2, s[0:1], 0x0
	s_lshl_b32 s3, s15, 9
	s_mov_b32 s4, exec_lo
	v_or_b32_e32 v1, s3, v0
	s_waitcnt lgkmcnt(0)
	s_delay_alu instid0(VALU_DEP_1)
	v_cmpx_gt_i32_e64 s2, v1
	s_cbranch_execz .LBB3_14
; %bb.1:
	s_load_b128 s[16:19], s[0:1], 0x8
	v_ashrrev_i32_e32 v2, 31, v1
	s_delay_alu instid0(VALU_DEP_1) | instskip(SKIP_1) | instid1(VALU_DEP_1)
	v_lshlrev_b64 v[2:3], 2, v[1:2]
	s_waitcnt lgkmcnt(0)
	v_add_co_u32 v4, vcc_lo, s18, v2
	s_delay_alu instid0(VALU_DEP_2)
	v_add_co_ci_u32_e32 v5, vcc_lo, s19, v3, vcc_lo
	global_load_b64 v[5:6], v[4:5], off
	s_clause 0x2
	s_load_b256 s[4:11], s[0:1], 0x28
	s_load_b128 s[12:15], s[0:1], 0x48
	s_load_b32 s18, s[0:1], 0x58
	s_waitcnt lgkmcnt(0)
	s_cmp_eq_u64 s[8:9], 0
	s_cbranch_scc1 .LBB3_3
; %bb.2:
	v_add_co_u32 v2, vcc_lo, s14, v2
	v_add_co_ci_u32_e32 v3, vcc_lo, s15, v3, vcc_lo
	global_load_b32 v2, v[2:3], off
	s_waitcnt vmcnt(0)
	v_subrev_nc_u32_e32 v4, s18, v2
	s_branch .LBB3_4
.LBB3_3:
	v_mov_b32_e32 v4, 0
.LBB3_4:
	s_load_b32 s14, s[0:1], 0x20
	s_waitcnt vmcnt(0)
	v_subrev_nc_u32_e32 v2, s18, v5
	v_subrev_nc_u32_e32 v10, s18, v6
	s_mov_b32 s15, exec_lo
	v_cmpx_lt_i32_e64 v5, v6
	s_cbranch_execz .LBB3_11
; %bb.5:
	s_load_b64 s[0:1], s[0:1], 0x18
	v_ashrrev_i32_e32 v3, 31, v2
	v_mov_b32_e32 v11, v2
	s_delay_alu instid0(VALU_DEP_2) | instskip(SKIP_1) | instid1(VALU_DEP_2)
	v_lshlrev_b64 v[8:9], 2, v[2:3]
	v_add_nc_u32_e32 v3, s18, v1
	v_add_co_u32 v6, vcc_lo, s16, v8
	s_delay_alu instid0(VALU_DEP_3)
	v_add_co_ci_u32_e32 v7, vcc_lo, s17, v9, vcc_lo
	s_mov_b32 s16, 0
	s_waitcnt lgkmcnt(0)
	v_add_co_u32 v8, vcc_lo, s0, v8
	v_add_co_ci_u32_e32 v9, vcc_lo, s1, v9, vcc_lo
	s_mov_b32 s1, 0
	s_branch .LBB3_7
.LBB3_6:                                ;   in Loop: Header=BB3_7 Depth=1
	v_dual_mov_b32 v4, v5 :: v_dual_add_nc_u32 v11, 1, v11
	v_add_co_u32 v6, vcc_lo, v6, 4
	v_add_co_ci_u32_e32 v7, vcc_lo, 0, v7, vcc_lo
	s_delay_alu instid0(VALU_DEP_3) | instskip(SKIP_1) | instid1(VALU_DEP_1)
	v_cmp_ge_i32_e32 vcc_lo, v11, v10
	v_add_co_u32 v8, s0, v8, 4
	v_add_co_ci_u32_e64 v9, s0, 0, v9, s0
	s_or_b32 s1, vcc_lo, s1
	s_delay_alu instid0(SALU_CYCLE_1)
	s_and_not1_b32 exec_lo, exec_lo, s1
	s_cbranch_execz .LBB3_11
.LBB3_7:                                ; =>This Inner Loop Header: Depth=1
	s_cmp_ge_i32 s16, s14
	s_cbranch_scc0 .LBB3_9
; %bb.8:                                ;   in Loop: Header=BB3_7 Depth=1
	v_ashrrev_i32_e32 v5, 31, v4
	s_delay_alu instid0(VALU_DEP_1) | instskip(SKIP_1) | instid1(VALU_DEP_2)
	v_lshlrev_b64 v[12:13], 2, v[4:5]
	v_add_nc_u32_e32 v5, 1, v4
	v_add_co_u32 v14, vcc_lo, s8, v12
	s_delay_alu instid0(VALU_DEP_3)
	v_add_co_ci_u32_e32 v15, vcc_lo, s9, v13, vcc_lo
	global_store_b32 v[14:15], v3, off
	global_load_b32 v16, v[8:9], off
	global_load_b32 v17, v[6:7], off
	v_add_co_u32 v14, vcc_lo, s10, v12
	v_add_co_ci_u32_e32 v15, vcc_lo, s11, v13, vcc_lo
	v_add_co_u32 v12, vcc_lo, s12, v12
	v_add_co_ci_u32_e32 v13, vcc_lo, s13, v13, vcc_lo
	s_waitcnt vmcnt(1)
	global_store_b32 v[14:15], v16, off
	s_waitcnt vmcnt(0)
	global_store_b32 v[12:13], v17, off
	s_cbranch_execnz .LBB3_6
	s_branch .LBB3_10
.LBB3_9:                                ;   in Loop: Header=BB3_7 Depth=1
                                        ; implicit-def: $vgpr5
.LBB3_10:                               ;   in Loop: Header=BB3_7 Depth=1
	global_load_b32 v16, v[8:9], off
	global_load_b32 v17, v[6:7], off
	v_mad_u64_u32 v[12:13], null, s16, s2, v[1:2]
	v_mov_b32_e32 v5, v4
	s_add_i32 s16, s16, 1
	s_delay_alu instid0(VALU_DEP_2) | instskip(NEXT) | instid1(VALU_DEP_1)
	v_ashrrev_i32_e32 v13, 31, v12
	v_lshlrev_b64 v[12:13], 2, v[12:13]
	s_delay_alu instid0(VALU_DEP_1) | instskip(NEXT) | instid1(VALU_DEP_2)
	v_add_co_u32 v14, vcc_lo, s4, v12
	v_add_co_ci_u32_e32 v15, vcc_lo, s5, v13, vcc_lo
	v_add_co_u32 v12, vcc_lo, s6, v12
	v_add_co_ci_u32_e32 v13, vcc_lo, s7, v13, vcc_lo
	s_waitcnt vmcnt(1)
	global_store_b32 v[14:15], v16, off
	s_waitcnt vmcnt(0)
	global_store_b32 v[12:13], v17, off
	s_branch .LBB3_6
.LBB3_11:
	s_or_b32 exec_lo, exec_lo, s15
	v_sub_nc_u32_e32 v2, v10, v2
	s_waitcnt lgkmcnt(0)
	s_delay_alu instid0(VALU_DEP_1)
	v_cmp_gt_i32_e32 vcc_lo, s14, v2
	s_and_b32 exec_lo, exec_lo, vcc_lo
	s_cbranch_execz .LBB3_14
; %bb.12:
	v_mul_lo_u32 v1, s2, v2
	v_dual_mov_b32 v3, -1 :: v_dual_mov_b32 v4, 0
	s_mov_b32 s1, 0
	s_delay_alu instid0(VALU_DEP_2)
	v_add3_u32 v0, v0, v1, s3
	.p2align	6
.LBB3_13:                               ; =>This Inner Loop Header: Depth=1
	s_delay_alu instid0(VALU_DEP_1) | instskip(SKIP_1) | instid1(VALU_DEP_2)
	v_ashrrev_i32_e32 v1, 31, v0
	v_add_nc_u32_e32 v2, 1, v2
	v_lshlrev_b64 v[5:6], 2, v[0:1]
	s_delay_alu instid0(VALU_DEP_2) | instskip(SKIP_2) | instid1(VALU_DEP_3)
	v_cmp_le_i32_e32 vcc_lo, s14, v2
	v_add_nc_u32_e32 v0, s2, v0
	s_or_b32 s1, vcc_lo, s1
	v_add_co_u32 v7, s0, s4, v5
	s_delay_alu instid0(VALU_DEP_1) | instskip(SKIP_1) | instid1(VALU_DEP_1)
	v_add_co_ci_u32_e64 v8, s0, s5, v6, s0
	v_add_co_u32 v5, s0, s6, v5
	v_add_co_ci_u32_e64 v6, s0, s7, v6, s0
	global_store_b32 v[7:8], v3, off
	global_store_b32 v[5:6], v4, off
	s_and_not1_b32 exec_lo, exec_lo, s1
	s_cbranch_execnz .LBB3_13
.LBB3_14:
	s_nop 0
	s_sendmsg sendmsg(MSG_DEALLOC_VGPRS)
	s_endpgm
	.section	.rodata,"a",@progbits
	.p2align	6, 0x0
	.amdhsa_kernel _ZN9rocsparseL14csr2hyb_kernelILj512EfEEviPKT0_PKiS5_iPiPS1_S6_S6_S7_S6_21rocsparse_index_base_
		.amdhsa_group_segment_fixed_size 0
		.amdhsa_private_segment_fixed_size 0
		.amdhsa_kernarg_size 92
		.amdhsa_user_sgpr_count 15
		.amdhsa_user_sgpr_dispatch_ptr 0
		.amdhsa_user_sgpr_queue_ptr 0
		.amdhsa_user_sgpr_kernarg_segment_ptr 1
		.amdhsa_user_sgpr_dispatch_id 0
		.amdhsa_user_sgpr_private_segment_size 0
		.amdhsa_wavefront_size32 1
		.amdhsa_uses_dynamic_stack 0
		.amdhsa_enable_private_segment 0
		.amdhsa_system_sgpr_workgroup_id_x 1
		.amdhsa_system_sgpr_workgroup_id_y 0
		.amdhsa_system_sgpr_workgroup_id_z 0
		.amdhsa_system_sgpr_workgroup_info 0
		.amdhsa_system_vgpr_workitem_id 0
		.amdhsa_next_free_vgpr 18
		.amdhsa_next_free_sgpr 20
		.amdhsa_reserve_vcc 1
		.amdhsa_float_round_mode_32 0
		.amdhsa_float_round_mode_16_64 0
		.amdhsa_float_denorm_mode_32 3
		.amdhsa_float_denorm_mode_16_64 3
		.amdhsa_dx10_clamp 1
		.amdhsa_ieee_mode 1
		.amdhsa_fp16_overflow 0
		.amdhsa_workgroup_processor_mode 1
		.amdhsa_memory_ordered 1
		.amdhsa_forward_progress 0
		.amdhsa_shared_vgpr_count 0
		.amdhsa_exception_fp_ieee_invalid_op 0
		.amdhsa_exception_fp_denorm_src 0
		.amdhsa_exception_fp_ieee_div_zero 0
		.amdhsa_exception_fp_ieee_overflow 0
		.amdhsa_exception_fp_ieee_underflow 0
		.amdhsa_exception_fp_ieee_inexact 0
		.amdhsa_exception_int_div_zero 0
	.end_amdhsa_kernel
	.section	.text._ZN9rocsparseL14csr2hyb_kernelILj512EfEEviPKT0_PKiS5_iPiPS1_S6_S6_S7_S6_21rocsparse_index_base_,"axG",@progbits,_ZN9rocsparseL14csr2hyb_kernelILj512EfEEviPKT0_PKiS5_iPiPS1_S6_S6_S7_S6_21rocsparse_index_base_,comdat
.Lfunc_end3:
	.size	_ZN9rocsparseL14csr2hyb_kernelILj512EfEEviPKT0_PKiS5_iPiPS1_S6_S6_S7_S6_21rocsparse_index_base_, .Lfunc_end3-_ZN9rocsparseL14csr2hyb_kernelILj512EfEEviPKT0_PKiS5_iPiPS1_S6_S6_S7_S6_21rocsparse_index_base_
                                        ; -- End function
	.section	.AMDGPU.csdata,"",@progbits
; Kernel info:
; codeLenInByte = 736
; NumSgprs: 22
; NumVgprs: 18
; ScratchSize: 0
; MemoryBound: 0
; FloatMode: 240
; IeeeMode: 1
; LDSByteSize: 0 bytes/workgroup (compile time only)
; SGPRBlocks: 2
; VGPRBlocks: 2
; NumSGPRsForWavesPerEU: 22
; NumVGPRsForWavesPerEU: 18
; Occupancy: 16
; WaveLimiterHint : 0
; COMPUTE_PGM_RSRC2:SCRATCH_EN: 0
; COMPUTE_PGM_RSRC2:USER_SGPR: 15
; COMPUTE_PGM_RSRC2:TRAP_HANDLER: 0
; COMPUTE_PGM_RSRC2:TGID_X_EN: 1
; COMPUTE_PGM_RSRC2:TGID_Y_EN: 0
; COMPUTE_PGM_RSRC2:TGID_Z_EN: 0
; COMPUTE_PGM_RSRC2:TIDIG_COMP_CNT: 0
	.section	.text._ZN9rocsparseL14csr2hyb_kernelILj512EdEEviPKT0_PKiS5_iPiPS1_S6_S6_S7_S6_21rocsparse_index_base_,"axG",@progbits,_ZN9rocsparseL14csr2hyb_kernelILj512EdEEviPKT0_PKiS5_iPiPS1_S6_S6_S7_S6_21rocsparse_index_base_,comdat
	.globl	_ZN9rocsparseL14csr2hyb_kernelILj512EdEEviPKT0_PKiS5_iPiPS1_S6_S6_S7_S6_21rocsparse_index_base_ ; -- Begin function _ZN9rocsparseL14csr2hyb_kernelILj512EdEEviPKT0_PKiS5_iPiPS1_S6_S6_S7_S6_21rocsparse_index_base_
	.p2align	8
	.type	_ZN9rocsparseL14csr2hyb_kernelILj512EdEEviPKT0_PKiS5_iPiPS1_S6_S6_S7_S6_21rocsparse_index_base_,@function
_ZN9rocsparseL14csr2hyb_kernelILj512EdEEviPKT0_PKiS5_iPiPS1_S6_S6_S7_S6_21rocsparse_index_base_: ; @_ZN9rocsparseL14csr2hyb_kernelILj512EdEEviPKT0_PKiS5_iPiPS1_S6_S6_S7_S6_21rocsparse_index_base_
; %bb.0:
	s_load_b32 s2, s[0:1], 0x0
	s_lshl_b32 s3, s15, 9
	s_mov_b32 s4, exec_lo
	v_or_b32_e32 v1, s3, v0
	s_waitcnt lgkmcnt(0)
	s_delay_alu instid0(VALU_DEP_1)
	v_cmpx_gt_i32_e64 s2, v1
	s_cbranch_execz .LBB4_14
; %bb.1:
	s_load_b128 s[16:19], s[0:1], 0x8
	v_ashrrev_i32_e32 v2, 31, v1
	s_delay_alu instid0(VALU_DEP_1) | instskip(SKIP_1) | instid1(VALU_DEP_1)
	v_lshlrev_b64 v[2:3], 2, v[1:2]
	s_waitcnt lgkmcnt(0)
	v_add_co_u32 v4, vcc_lo, s18, v2
	s_delay_alu instid0(VALU_DEP_2)
	v_add_co_ci_u32_e32 v5, vcc_lo, s19, v3, vcc_lo
	global_load_b64 v[5:6], v[4:5], off
	s_clause 0x2
	s_load_b256 s[4:11], s[0:1], 0x28
	s_load_b128 s[12:15], s[0:1], 0x48
	s_load_b32 s18, s[0:1], 0x58
	s_waitcnt lgkmcnt(0)
	s_cmp_eq_u64 s[8:9], 0
	s_cbranch_scc1 .LBB4_3
; %bb.2:
	v_add_co_u32 v2, vcc_lo, s14, v2
	v_add_co_ci_u32_e32 v3, vcc_lo, s15, v3, vcc_lo
	global_load_b32 v2, v[2:3], off
	s_waitcnt vmcnt(0)
	v_subrev_nc_u32_e32 v4, s18, v2
	s_branch .LBB4_4
.LBB4_3:
	v_mov_b32_e32 v4, 0
.LBB4_4:
	s_load_b32 s14, s[0:1], 0x20
	s_waitcnt vmcnt(0)
	v_subrev_nc_u32_e32 v2, s18, v5
	v_subrev_nc_u32_e32 v10, s18, v6
	s_mov_b32 s15, exec_lo
	v_cmpx_lt_i32_e64 v5, v6
	s_cbranch_execz .LBB4_11
; %bb.5:
	s_load_b64 s[0:1], s[0:1], 0x18
	v_ashrrev_i32_e32 v3, 31, v2
	v_add_nc_u32_e32 v11, s18, v1
	s_delay_alu instid0(VALU_DEP_2) | instskip(SKIP_2) | instid1(VALU_DEP_3)
	v_lshlrev_b64 v[6:7], 3, v[2:3]
	v_lshlrev_b64 v[8:9], 2, v[2:3]
	v_mov_b32_e32 v3, v2
	v_add_co_u32 v6, vcc_lo, s16, v6
	s_delay_alu instid0(VALU_DEP_4)
	v_add_co_ci_u32_e32 v7, vcc_lo, s17, v7, vcc_lo
	s_mov_b32 s16, 0
	s_waitcnt lgkmcnt(0)
	v_add_co_u32 v8, vcc_lo, s0, v8
	v_add_co_ci_u32_e32 v9, vcc_lo, s1, v9, vcc_lo
	s_mov_b32 s1, 0
	s_branch .LBB4_7
.LBB4_6:                                ;   in Loop: Header=BB4_7 Depth=1
	v_dual_mov_b32 v4, v5 :: v_dual_add_nc_u32 v3, 1, v3
	v_add_co_u32 v6, vcc_lo, v6, 8
	v_add_co_ci_u32_e32 v7, vcc_lo, 0, v7, vcc_lo
	s_delay_alu instid0(VALU_DEP_3) | instskip(SKIP_1) | instid1(VALU_DEP_1)
	v_cmp_ge_i32_e32 vcc_lo, v3, v10
	v_add_co_u32 v8, s0, v8, 4
	v_add_co_ci_u32_e64 v9, s0, 0, v9, s0
	s_or_b32 s1, vcc_lo, s1
	s_delay_alu instid0(SALU_CYCLE_1)
	s_and_not1_b32 exec_lo, exec_lo, s1
	s_cbranch_execz .LBB4_11
.LBB4_7:                                ; =>This Inner Loop Header: Depth=1
	s_cmp_ge_i32 s16, s14
	s_cbranch_scc0 .LBB4_9
; %bb.8:                                ;   in Loop: Header=BB4_7 Depth=1
	v_ashrrev_i32_e32 v5, 31, v4
	s_delay_alu instid0(VALU_DEP_1) | instskip(SKIP_2) | instid1(VALU_DEP_3)
	v_lshlrev_b64 v[12:13], 2, v[4:5]
	v_lshlrev_b64 v[16:17], 3, v[4:5]
	v_add_nc_u32_e32 v5, 1, v4
	v_add_co_u32 v14, vcc_lo, s8, v12
	s_delay_alu instid0(VALU_DEP_4)
	v_add_co_ci_u32_e32 v15, vcc_lo, s9, v13, vcc_lo
	v_add_co_u32 v12, vcc_lo, s10, v12
	v_add_co_ci_u32_e32 v13, vcc_lo, s11, v13, vcc_lo
	global_store_b32 v[14:15], v11, off
	global_load_b32 v18, v[8:9], off
	global_load_b64 v[14:15], v[6:7], off
	v_add_co_u32 v16, vcc_lo, s12, v16
	v_add_co_ci_u32_e32 v17, vcc_lo, s13, v17, vcc_lo
	s_waitcnt vmcnt(1)
	global_store_b32 v[12:13], v18, off
	s_waitcnt vmcnt(0)
	global_store_b64 v[16:17], v[14:15], off
	s_cbranch_execnz .LBB4_6
	s_branch .LBB4_10
.LBB4_9:                                ;   in Loop: Header=BB4_7 Depth=1
                                        ; implicit-def: $vgpr5
.LBB4_10:                               ;   in Loop: Header=BB4_7 Depth=1
	global_load_b32 v18, v[8:9], off
	global_load_b64 v[12:13], v[6:7], off
	v_mad_u64_u32 v[14:15], null, s16, s2, v[1:2]
	v_mov_b32_e32 v5, v4
	s_add_i32 s16, s16, 1
	s_delay_alu instid0(VALU_DEP_2) | instskip(NEXT) | instid1(VALU_DEP_1)
	v_ashrrev_i32_e32 v15, 31, v14
	v_lshlrev_b64 v[16:17], 2, v[14:15]
	v_lshlrev_b64 v[14:15], 3, v[14:15]
	s_delay_alu instid0(VALU_DEP_2) | instskip(NEXT) | instid1(VALU_DEP_3)
	v_add_co_u32 v16, vcc_lo, s4, v16
	v_add_co_ci_u32_e32 v17, vcc_lo, s5, v17, vcc_lo
	s_delay_alu instid0(VALU_DEP_3) | instskip(NEXT) | instid1(VALU_DEP_4)
	v_add_co_u32 v14, vcc_lo, s6, v14
	v_add_co_ci_u32_e32 v15, vcc_lo, s7, v15, vcc_lo
	s_waitcnt vmcnt(1)
	global_store_b32 v[16:17], v18, off
	s_waitcnt vmcnt(0)
	global_store_b64 v[14:15], v[12:13], off
	s_branch .LBB4_6
.LBB4_11:
	s_or_b32 exec_lo, exec_lo, s15
	v_sub_nc_u32_e32 v5, v10, v2
	s_waitcnt lgkmcnt(0)
	s_delay_alu instid0(VALU_DEP_1)
	v_cmp_gt_i32_e32 vcc_lo, s14, v5
	s_and_b32 exec_lo, exec_lo, vcc_lo
	s_cbranch_execz .LBB4_14
; %bb.12:
	v_mul_lo_u32 v2, s2, v5
	v_dual_mov_b32 v1, 0 :: v_dual_mov_b32 v6, -1
	s_mov_b32 s1, 0
	s_delay_alu instid0(VALU_DEP_2) | instskip(NEXT) | instid1(VALU_DEP_2)
	v_add3_u32 v3, v0, v2, s3
	v_mov_b32_e32 v2, v1
	.p2align	6
.LBB4_13:                               ; =>This Inner Loop Header: Depth=1
	s_delay_alu instid0(VALU_DEP_2) | instskip(SKIP_1) | instid1(VALU_DEP_2)
	v_ashrrev_i32_e32 v4, 31, v3
	v_add_nc_u32_e32 v5, 1, v5
	v_lshlrev_b64 v[7:8], 2, v[3:4]
	v_lshlrev_b64 v[9:10], 3, v[3:4]
	s_delay_alu instid0(VALU_DEP_3) | instskip(SKIP_1) | instid1(VALU_DEP_4)
	v_cmp_le_i32_e32 vcc_lo, s14, v5
	v_add_nc_u32_e32 v3, s2, v3
	v_add_co_u32 v7, s0, s4, v7
	s_delay_alu instid0(VALU_DEP_1) | instskip(SKIP_1) | instid1(VALU_DEP_1)
	v_add_co_ci_u32_e64 v8, s0, s5, v8, s0
	v_add_co_u32 v9, s0, s6, v9
	v_add_co_ci_u32_e64 v10, s0, s7, v10, s0
	s_or_b32 s1, vcc_lo, s1
	global_store_b32 v[7:8], v6, off
	global_store_b64 v[9:10], v[1:2], off
	s_and_not1_b32 exec_lo, exec_lo, s1
	s_cbranch_execnz .LBB4_13
.LBB4_14:
	s_nop 0
	s_sendmsg sendmsg(MSG_DEALLOC_VGPRS)
	s_endpgm
	.section	.rodata,"a",@progbits
	.p2align	6, 0x0
	.amdhsa_kernel _ZN9rocsparseL14csr2hyb_kernelILj512EdEEviPKT0_PKiS5_iPiPS1_S6_S6_S7_S6_21rocsparse_index_base_
		.amdhsa_group_segment_fixed_size 0
		.amdhsa_private_segment_fixed_size 0
		.amdhsa_kernarg_size 92
		.amdhsa_user_sgpr_count 15
		.amdhsa_user_sgpr_dispatch_ptr 0
		.amdhsa_user_sgpr_queue_ptr 0
		.amdhsa_user_sgpr_kernarg_segment_ptr 1
		.amdhsa_user_sgpr_dispatch_id 0
		.amdhsa_user_sgpr_private_segment_size 0
		.amdhsa_wavefront_size32 1
		.amdhsa_uses_dynamic_stack 0
		.amdhsa_enable_private_segment 0
		.amdhsa_system_sgpr_workgroup_id_x 1
		.amdhsa_system_sgpr_workgroup_id_y 0
		.amdhsa_system_sgpr_workgroup_id_z 0
		.amdhsa_system_sgpr_workgroup_info 0
		.amdhsa_system_vgpr_workitem_id 0
		.amdhsa_next_free_vgpr 19
		.amdhsa_next_free_sgpr 20
		.amdhsa_reserve_vcc 1
		.amdhsa_float_round_mode_32 0
		.amdhsa_float_round_mode_16_64 0
		.amdhsa_float_denorm_mode_32 3
		.amdhsa_float_denorm_mode_16_64 3
		.amdhsa_dx10_clamp 1
		.amdhsa_ieee_mode 1
		.amdhsa_fp16_overflow 0
		.amdhsa_workgroup_processor_mode 1
		.amdhsa_memory_ordered 1
		.amdhsa_forward_progress 0
		.amdhsa_shared_vgpr_count 0
		.amdhsa_exception_fp_ieee_invalid_op 0
		.amdhsa_exception_fp_denorm_src 0
		.amdhsa_exception_fp_ieee_div_zero 0
		.amdhsa_exception_fp_ieee_overflow 0
		.amdhsa_exception_fp_ieee_underflow 0
		.amdhsa_exception_fp_ieee_inexact 0
		.amdhsa_exception_int_div_zero 0
	.end_amdhsa_kernel
	.section	.text._ZN9rocsparseL14csr2hyb_kernelILj512EdEEviPKT0_PKiS5_iPiPS1_S6_S6_S7_S6_21rocsparse_index_base_,"axG",@progbits,_ZN9rocsparseL14csr2hyb_kernelILj512EdEEviPKT0_PKiS5_iPiPS1_S6_S6_S7_S6_21rocsparse_index_base_,comdat
.Lfunc_end4:
	.size	_ZN9rocsparseL14csr2hyb_kernelILj512EdEEviPKT0_PKiS5_iPiPS1_S6_S6_S7_S6_21rocsparse_index_base_, .Lfunc_end4-_ZN9rocsparseL14csr2hyb_kernelILj512EdEEviPKT0_PKiS5_iPiPS1_S6_S6_S7_S6_21rocsparse_index_base_
                                        ; -- End function
	.section	.AMDGPU.csdata,"",@progbits
; Kernel info:
; codeLenInByte = 776
; NumSgprs: 22
; NumVgprs: 19
; ScratchSize: 0
; MemoryBound: 0
; FloatMode: 240
; IeeeMode: 1
; LDSByteSize: 0 bytes/workgroup (compile time only)
; SGPRBlocks: 2
; VGPRBlocks: 2
; NumSGPRsForWavesPerEU: 22
; NumVGPRsForWavesPerEU: 19
; Occupancy: 16
; WaveLimiterHint : 0
; COMPUTE_PGM_RSRC2:SCRATCH_EN: 0
; COMPUTE_PGM_RSRC2:USER_SGPR: 15
; COMPUTE_PGM_RSRC2:TRAP_HANDLER: 0
; COMPUTE_PGM_RSRC2:TGID_X_EN: 1
; COMPUTE_PGM_RSRC2:TGID_Y_EN: 0
; COMPUTE_PGM_RSRC2:TGID_Z_EN: 0
; COMPUTE_PGM_RSRC2:TIDIG_COMP_CNT: 0
	.section	.text._ZN9rocsparseL14csr2hyb_kernelILj512E21rocsparse_complex_numIfEEEviPKT0_PKiS7_iPiPS3_S8_S8_S9_S8_21rocsparse_index_base_,"axG",@progbits,_ZN9rocsparseL14csr2hyb_kernelILj512E21rocsparse_complex_numIfEEEviPKT0_PKiS7_iPiPS3_S8_S8_S9_S8_21rocsparse_index_base_,comdat
	.globl	_ZN9rocsparseL14csr2hyb_kernelILj512E21rocsparse_complex_numIfEEEviPKT0_PKiS7_iPiPS3_S8_S8_S9_S8_21rocsparse_index_base_ ; -- Begin function _ZN9rocsparseL14csr2hyb_kernelILj512E21rocsparse_complex_numIfEEEviPKT0_PKiS7_iPiPS3_S8_S8_S9_S8_21rocsparse_index_base_
	.p2align	8
	.type	_ZN9rocsparseL14csr2hyb_kernelILj512E21rocsparse_complex_numIfEEEviPKT0_PKiS7_iPiPS3_S8_S8_S9_S8_21rocsparse_index_base_,@function
_ZN9rocsparseL14csr2hyb_kernelILj512E21rocsparse_complex_numIfEEEviPKT0_PKiS7_iPiPS3_S8_S8_S9_S8_21rocsparse_index_base_: ; @_ZN9rocsparseL14csr2hyb_kernelILj512E21rocsparse_complex_numIfEEEviPKT0_PKiS7_iPiPS3_S8_S8_S9_S8_21rocsparse_index_base_
; %bb.0:
	s_load_b32 s2, s[0:1], 0x0
	s_lshl_b32 s3, s15, 9
	s_mov_b32 s4, exec_lo
	v_or_b32_e32 v1, s3, v0
	s_waitcnt lgkmcnt(0)
	s_delay_alu instid0(VALU_DEP_1)
	v_cmpx_gt_i32_e64 s2, v1
	s_cbranch_execz .LBB5_14
; %bb.1:
	s_load_b128 s[16:19], s[0:1], 0x8
	v_ashrrev_i32_e32 v2, 31, v1
	s_delay_alu instid0(VALU_DEP_1) | instskip(SKIP_1) | instid1(VALU_DEP_1)
	v_lshlrev_b64 v[2:3], 2, v[1:2]
	s_waitcnt lgkmcnt(0)
	v_add_co_u32 v4, vcc_lo, s18, v2
	s_delay_alu instid0(VALU_DEP_2)
	v_add_co_ci_u32_e32 v5, vcc_lo, s19, v3, vcc_lo
	global_load_b64 v[5:6], v[4:5], off
	s_clause 0x2
	s_load_b256 s[4:11], s[0:1], 0x28
	s_load_b128 s[12:15], s[0:1], 0x48
	s_load_b32 s18, s[0:1], 0x58
	s_waitcnt lgkmcnt(0)
	s_cmp_eq_u64 s[8:9], 0
	s_cbranch_scc1 .LBB5_3
; %bb.2:
	v_add_co_u32 v2, vcc_lo, s14, v2
	v_add_co_ci_u32_e32 v3, vcc_lo, s15, v3, vcc_lo
	global_load_b32 v2, v[2:3], off
	s_waitcnt vmcnt(0)
	v_subrev_nc_u32_e32 v4, s18, v2
	s_branch .LBB5_4
.LBB5_3:
	v_mov_b32_e32 v4, 0
.LBB5_4:
	s_load_b32 s14, s[0:1], 0x20
	s_waitcnt vmcnt(0)
	v_subrev_nc_u32_e32 v2, s18, v5
	v_subrev_nc_u32_e32 v10, s18, v6
	s_mov_b32 s15, exec_lo
	v_cmpx_lt_i32_e64 v5, v6
	s_cbranch_execz .LBB5_11
; %bb.5:
	s_load_b64 s[0:1], s[0:1], 0x18
	v_ashrrev_i32_e32 v3, 31, v2
	v_add_nc_u32_e32 v11, s18, v1
	s_delay_alu instid0(VALU_DEP_2) | instskip(SKIP_2) | instid1(VALU_DEP_3)
	v_lshlrev_b64 v[6:7], 3, v[2:3]
	v_lshlrev_b64 v[8:9], 2, v[2:3]
	v_mov_b32_e32 v3, v2
	v_add_co_u32 v6, vcc_lo, s16, v6
	s_delay_alu instid0(VALU_DEP_4)
	v_add_co_ci_u32_e32 v7, vcc_lo, s17, v7, vcc_lo
	s_mov_b32 s16, 0
	s_waitcnt lgkmcnt(0)
	v_add_co_u32 v8, vcc_lo, s0, v8
	v_add_co_ci_u32_e32 v9, vcc_lo, s1, v9, vcc_lo
	s_mov_b32 s1, 0
	s_branch .LBB5_7
.LBB5_6:                                ;   in Loop: Header=BB5_7 Depth=1
	v_dual_mov_b32 v4, v5 :: v_dual_add_nc_u32 v3, 1, v3
	v_add_co_u32 v6, vcc_lo, v6, 8
	v_add_co_ci_u32_e32 v7, vcc_lo, 0, v7, vcc_lo
	s_delay_alu instid0(VALU_DEP_3) | instskip(SKIP_1) | instid1(VALU_DEP_1)
	v_cmp_ge_i32_e32 vcc_lo, v3, v10
	v_add_co_u32 v8, s0, v8, 4
	v_add_co_ci_u32_e64 v9, s0, 0, v9, s0
	s_or_b32 s1, vcc_lo, s1
	s_delay_alu instid0(SALU_CYCLE_1)
	s_and_not1_b32 exec_lo, exec_lo, s1
	s_cbranch_execz .LBB5_11
.LBB5_7:                                ; =>This Inner Loop Header: Depth=1
	s_cmp_ge_i32 s16, s14
	s_cbranch_scc0 .LBB5_9
; %bb.8:                                ;   in Loop: Header=BB5_7 Depth=1
	v_ashrrev_i32_e32 v5, 31, v4
	s_delay_alu instid0(VALU_DEP_1) | instskip(NEXT) | instid1(VALU_DEP_1)
	v_lshlrev_b64 v[12:13], 2, v[4:5]
	v_add_co_u32 v14, vcc_lo, s8, v12
	s_delay_alu instid0(VALU_DEP_2)
	v_add_co_ci_u32_e32 v15, vcc_lo, s9, v13, vcc_lo
	v_add_co_u32 v12, vcc_lo, s10, v12
	v_add_co_ci_u32_e32 v13, vcc_lo, s11, v13, vcc_lo
	global_store_b32 v[14:15], v11, off
	global_load_b32 v14, v[8:9], off
	s_waitcnt vmcnt(0)
	global_store_b32 v[12:13], v14, off
	global_load_b64 v[12:13], v[6:7], off
	v_lshlrev_b64 v[14:15], 3, v[4:5]
	v_add_nc_u32_e32 v5, 1, v4
	s_delay_alu instid0(VALU_DEP_2) | instskip(NEXT) | instid1(VALU_DEP_3)
	v_add_co_u32 v14, vcc_lo, s12, v14
	v_add_co_ci_u32_e32 v15, vcc_lo, s13, v15, vcc_lo
	s_waitcnt vmcnt(0)
	global_store_b64 v[14:15], v[12:13], off
	s_cbranch_execnz .LBB5_6
	s_branch .LBB5_10
.LBB5_9:                                ;   in Loop: Header=BB5_7 Depth=1
                                        ; implicit-def: $vgpr5
.LBB5_10:                               ;   in Loop: Header=BB5_7 Depth=1
	global_load_b32 v5, v[8:9], off
	v_mad_u64_u32 v[12:13], null, s16, s2, v[1:2]
	s_add_i32 s16, s16, 1
	s_delay_alu instid0(VALU_DEP_1) | instskip(NEXT) | instid1(VALU_DEP_1)
	v_ashrrev_i32_e32 v13, 31, v12
	v_lshlrev_b64 v[14:15], 2, v[12:13]
	v_lshlrev_b64 v[12:13], 3, v[12:13]
	s_delay_alu instid0(VALU_DEP_2) | instskip(NEXT) | instid1(VALU_DEP_3)
	v_add_co_u32 v14, vcc_lo, s4, v14
	v_add_co_ci_u32_e32 v15, vcc_lo, s5, v15, vcc_lo
	s_delay_alu instid0(VALU_DEP_3) | instskip(NEXT) | instid1(VALU_DEP_4)
	v_add_co_u32 v12, vcc_lo, s6, v12
	v_add_co_ci_u32_e32 v13, vcc_lo, s7, v13, vcc_lo
	s_waitcnt vmcnt(0)
	global_store_b32 v[14:15], v5, off
	global_load_b64 v[14:15], v[6:7], off
	v_mov_b32_e32 v5, v4
	s_waitcnt vmcnt(0)
	global_store_b64 v[12:13], v[14:15], off
	s_branch .LBB5_6
.LBB5_11:
	s_or_b32 exec_lo, exec_lo, s15
	v_sub_nc_u32_e32 v5, v10, v2
	s_waitcnt lgkmcnt(0)
	s_delay_alu instid0(VALU_DEP_1)
	v_cmp_gt_i32_e32 vcc_lo, s14, v5
	s_and_b32 exec_lo, exec_lo, vcc_lo
	s_cbranch_execz .LBB5_14
; %bb.12:
	v_mul_lo_u32 v2, s2, v5
	v_dual_mov_b32 v1, 0 :: v_dual_mov_b32 v6, -1
	s_mov_b32 s1, 0
	s_delay_alu instid0(VALU_DEP_2) | instskip(NEXT) | instid1(VALU_DEP_2)
	v_add3_u32 v3, v0, v2, s3
	v_mov_b32_e32 v2, v1
	.p2align	6
.LBB5_13:                               ; =>This Inner Loop Header: Depth=1
	s_delay_alu instid0(VALU_DEP_2) | instskip(SKIP_1) | instid1(VALU_DEP_2)
	v_ashrrev_i32_e32 v4, 31, v3
	v_add_nc_u32_e32 v5, 1, v5
	v_lshlrev_b64 v[7:8], 2, v[3:4]
	v_lshlrev_b64 v[9:10], 3, v[3:4]
	s_delay_alu instid0(VALU_DEP_3) | instskip(SKIP_1) | instid1(VALU_DEP_4)
	v_cmp_le_i32_e32 vcc_lo, s14, v5
	v_add_nc_u32_e32 v3, s2, v3
	v_add_co_u32 v7, s0, s4, v7
	s_delay_alu instid0(VALU_DEP_1) | instskip(SKIP_1) | instid1(VALU_DEP_1)
	v_add_co_ci_u32_e64 v8, s0, s5, v8, s0
	v_add_co_u32 v9, s0, s6, v9
	v_add_co_ci_u32_e64 v10, s0, s7, v10, s0
	s_or_b32 s1, vcc_lo, s1
	global_store_b32 v[7:8], v6, off
	global_store_b64 v[9:10], v[1:2], off
	s_and_not1_b32 exec_lo, exec_lo, s1
	s_cbranch_execnz .LBB5_13
.LBB5_14:
	s_nop 0
	s_sendmsg sendmsg(MSG_DEALLOC_VGPRS)
	s_endpgm
	.section	.rodata,"a",@progbits
	.p2align	6, 0x0
	.amdhsa_kernel _ZN9rocsparseL14csr2hyb_kernelILj512E21rocsparse_complex_numIfEEEviPKT0_PKiS7_iPiPS3_S8_S8_S9_S8_21rocsparse_index_base_
		.amdhsa_group_segment_fixed_size 0
		.amdhsa_private_segment_fixed_size 0
		.amdhsa_kernarg_size 92
		.amdhsa_user_sgpr_count 15
		.amdhsa_user_sgpr_dispatch_ptr 0
		.amdhsa_user_sgpr_queue_ptr 0
		.amdhsa_user_sgpr_kernarg_segment_ptr 1
		.amdhsa_user_sgpr_dispatch_id 0
		.amdhsa_user_sgpr_private_segment_size 0
		.amdhsa_wavefront_size32 1
		.amdhsa_uses_dynamic_stack 0
		.amdhsa_enable_private_segment 0
		.amdhsa_system_sgpr_workgroup_id_x 1
		.amdhsa_system_sgpr_workgroup_id_y 0
		.amdhsa_system_sgpr_workgroup_id_z 0
		.amdhsa_system_sgpr_workgroup_info 0
		.amdhsa_system_vgpr_workitem_id 0
		.amdhsa_next_free_vgpr 16
		.amdhsa_next_free_sgpr 20
		.amdhsa_reserve_vcc 1
		.amdhsa_float_round_mode_32 0
		.amdhsa_float_round_mode_16_64 0
		.amdhsa_float_denorm_mode_32 3
		.amdhsa_float_denorm_mode_16_64 3
		.amdhsa_dx10_clamp 1
		.amdhsa_ieee_mode 1
		.amdhsa_fp16_overflow 0
		.amdhsa_workgroup_processor_mode 1
		.amdhsa_memory_ordered 1
		.amdhsa_forward_progress 0
		.amdhsa_shared_vgpr_count 0
		.amdhsa_exception_fp_ieee_invalid_op 0
		.amdhsa_exception_fp_denorm_src 0
		.amdhsa_exception_fp_ieee_div_zero 0
		.amdhsa_exception_fp_ieee_overflow 0
		.amdhsa_exception_fp_ieee_underflow 0
		.amdhsa_exception_fp_ieee_inexact 0
		.amdhsa_exception_int_div_zero 0
	.end_amdhsa_kernel
	.section	.text._ZN9rocsparseL14csr2hyb_kernelILj512E21rocsparse_complex_numIfEEEviPKT0_PKiS7_iPiPS3_S8_S8_S9_S8_21rocsparse_index_base_,"axG",@progbits,_ZN9rocsparseL14csr2hyb_kernelILj512E21rocsparse_complex_numIfEEEviPKT0_PKiS7_iPiPS3_S8_S8_S9_S8_21rocsparse_index_base_,comdat
.Lfunc_end5:
	.size	_ZN9rocsparseL14csr2hyb_kernelILj512E21rocsparse_complex_numIfEEEviPKT0_PKiS7_iPiPS3_S8_S8_S9_S8_21rocsparse_index_base_, .Lfunc_end5-_ZN9rocsparseL14csr2hyb_kernelILj512E21rocsparse_complex_numIfEEEviPKT0_PKiS7_iPiPS3_S8_S8_S9_S8_21rocsparse_index_base_
                                        ; -- End function
	.section	.AMDGPU.csdata,"",@progbits
; Kernel info:
; codeLenInByte = 780
; NumSgprs: 22
; NumVgprs: 16
; ScratchSize: 0
; MemoryBound: 0
; FloatMode: 240
; IeeeMode: 1
; LDSByteSize: 0 bytes/workgroup (compile time only)
; SGPRBlocks: 2
; VGPRBlocks: 1
; NumSGPRsForWavesPerEU: 22
; NumVGPRsForWavesPerEU: 16
; Occupancy: 16
; WaveLimiterHint : 0
; COMPUTE_PGM_RSRC2:SCRATCH_EN: 0
; COMPUTE_PGM_RSRC2:USER_SGPR: 15
; COMPUTE_PGM_RSRC2:TRAP_HANDLER: 0
; COMPUTE_PGM_RSRC2:TGID_X_EN: 1
; COMPUTE_PGM_RSRC2:TGID_Y_EN: 0
; COMPUTE_PGM_RSRC2:TGID_Z_EN: 0
; COMPUTE_PGM_RSRC2:TIDIG_COMP_CNT: 0
	.section	.text._ZN9rocsparseL14csr2hyb_kernelILj512E21rocsparse_complex_numIdEEEviPKT0_PKiS7_iPiPS3_S8_S8_S9_S8_21rocsparse_index_base_,"axG",@progbits,_ZN9rocsparseL14csr2hyb_kernelILj512E21rocsparse_complex_numIdEEEviPKT0_PKiS7_iPiPS3_S8_S8_S9_S8_21rocsparse_index_base_,comdat
	.globl	_ZN9rocsparseL14csr2hyb_kernelILj512E21rocsparse_complex_numIdEEEviPKT0_PKiS7_iPiPS3_S8_S8_S9_S8_21rocsparse_index_base_ ; -- Begin function _ZN9rocsparseL14csr2hyb_kernelILj512E21rocsparse_complex_numIdEEEviPKT0_PKiS7_iPiPS3_S8_S8_S9_S8_21rocsparse_index_base_
	.p2align	8
	.type	_ZN9rocsparseL14csr2hyb_kernelILj512E21rocsparse_complex_numIdEEEviPKT0_PKiS7_iPiPS3_S8_S8_S9_S8_21rocsparse_index_base_,@function
_ZN9rocsparseL14csr2hyb_kernelILj512E21rocsparse_complex_numIdEEEviPKT0_PKiS7_iPiPS3_S8_S8_S9_S8_21rocsparse_index_base_: ; @_ZN9rocsparseL14csr2hyb_kernelILj512E21rocsparse_complex_numIdEEEviPKT0_PKiS7_iPiPS3_S8_S8_S9_S8_21rocsparse_index_base_
; %bb.0:
	s_load_b32 s2, s[0:1], 0x0
	s_lshl_b32 s3, s15, 9
	s_mov_b32 s4, exec_lo
	v_or_b32_e32 v1, s3, v0
	s_waitcnt lgkmcnt(0)
	s_delay_alu instid0(VALU_DEP_1)
	v_cmpx_gt_i32_e64 s2, v1
	s_cbranch_execz .LBB6_14
; %bb.1:
	s_load_b128 s[16:19], s[0:1], 0x8
	v_ashrrev_i32_e32 v2, 31, v1
	s_delay_alu instid0(VALU_DEP_1) | instskip(SKIP_1) | instid1(VALU_DEP_1)
	v_lshlrev_b64 v[2:3], 2, v[1:2]
	s_waitcnt lgkmcnt(0)
	v_add_co_u32 v4, vcc_lo, s18, v2
	s_delay_alu instid0(VALU_DEP_2)
	v_add_co_ci_u32_e32 v5, vcc_lo, s19, v3, vcc_lo
	global_load_b64 v[5:6], v[4:5], off
	s_clause 0x2
	s_load_b256 s[4:11], s[0:1], 0x28
	s_load_b128 s[12:15], s[0:1], 0x48
	s_load_b32 s18, s[0:1], 0x58
	s_waitcnt lgkmcnt(0)
	s_cmp_eq_u64 s[8:9], 0
	s_cbranch_scc1 .LBB6_3
; %bb.2:
	v_add_co_u32 v2, vcc_lo, s14, v2
	v_add_co_ci_u32_e32 v3, vcc_lo, s15, v3, vcc_lo
	global_load_b32 v2, v[2:3], off
	s_waitcnt vmcnt(0)
	v_subrev_nc_u32_e32 v4, s18, v2
	s_branch .LBB6_4
.LBB6_3:
	v_mov_b32_e32 v4, 0
.LBB6_4:
	s_load_b32 s14, s[0:1], 0x20
	s_waitcnt vmcnt(0)
	v_subrev_nc_u32_e32 v2, s18, v5
	v_subrev_nc_u32_e32 v10, s18, v6
	s_mov_b32 s15, exec_lo
	v_cmpx_lt_i32_e64 v5, v6
	s_cbranch_execz .LBB6_11
; %bb.5:
	s_load_b64 s[0:1], s[0:1], 0x18
	v_ashrrev_i32_e32 v3, 31, v2
	v_add_nc_u32_e32 v11, s18, v1
	s_delay_alu instid0(VALU_DEP_2) | instskip(SKIP_2) | instid1(VALU_DEP_3)
	v_lshlrev_b64 v[6:7], 4, v[2:3]
	v_lshlrev_b64 v[8:9], 2, v[2:3]
	v_mov_b32_e32 v3, v2
	v_add_co_u32 v6, vcc_lo, s16, v6
	s_delay_alu instid0(VALU_DEP_4)
	v_add_co_ci_u32_e32 v7, vcc_lo, s17, v7, vcc_lo
	s_mov_b32 s16, 0
	s_waitcnt lgkmcnt(0)
	v_add_co_u32 v8, vcc_lo, s0, v8
	v_add_co_ci_u32_e32 v9, vcc_lo, s1, v9, vcc_lo
	s_mov_b32 s1, 0
	s_branch .LBB6_7
.LBB6_6:                                ;   in Loop: Header=BB6_7 Depth=1
	v_dual_mov_b32 v4, v5 :: v_dual_add_nc_u32 v3, 1, v3
	v_add_co_u32 v6, vcc_lo, v6, 16
	v_add_co_ci_u32_e32 v7, vcc_lo, 0, v7, vcc_lo
	s_delay_alu instid0(VALU_DEP_3) | instskip(SKIP_1) | instid1(VALU_DEP_1)
	v_cmp_ge_i32_e32 vcc_lo, v3, v10
	v_add_co_u32 v8, s0, v8, 4
	v_add_co_ci_u32_e64 v9, s0, 0, v9, s0
	s_or_b32 s1, vcc_lo, s1
	s_delay_alu instid0(SALU_CYCLE_1)
	s_and_not1_b32 exec_lo, exec_lo, s1
	s_cbranch_execz .LBB6_11
.LBB6_7:                                ; =>This Inner Loop Header: Depth=1
	s_cmp_ge_i32 s16, s14
	s_cbranch_scc0 .LBB6_9
; %bb.8:                                ;   in Loop: Header=BB6_7 Depth=1
	v_ashrrev_i32_e32 v5, 31, v4
	s_delay_alu instid0(VALU_DEP_1) | instskip(SKIP_2) | instid1(VALU_DEP_3)
	v_lshlrev_b64 v[12:13], 2, v[4:5]
	v_lshlrev_b64 v[16:17], 4, v[4:5]
	v_add_nc_u32_e32 v5, 1, v4
	v_add_co_u32 v14, vcc_lo, s8, v12
	s_delay_alu instid0(VALU_DEP_4)
	v_add_co_ci_u32_e32 v15, vcc_lo, s9, v13, vcc_lo
	v_add_co_u32 v12, vcc_lo, s10, v12
	v_add_co_ci_u32_e32 v13, vcc_lo, s11, v13, vcc_lo
	global_store_b32 v[14:15], v11, off
	global_load_b32 v14, v[8:9], off
	v_add_co_u32 v16, vcc_lo, s12, v16
	v_add_co_ci_u32_e32 v17, vcc_lo, s13, v17, vcc_lo
	s_waitcnt vmcnt(0)
	global_store_b32 v[12:13], v14, off
	global_load_b128 v[12:15], v[6:7], off
	s_waitcnt vmcnt(0)
	global_store_b128 v[16:17], v[12:15], off
	s_cbranch_execnz .LBB6_6
	s_branch .LBB6_10
.LBB6_9:                                ;   in Loop: Header=BB6_7 Depth=1
                                        ; implicit-def: $vgpr5
.LBB6_10:                               ;   in Loop: Header=BB6_7 Depth=1
	global_load_b32 v5, v[8:9], off
	v_mad_u64_u32 v[16:17], null, s16, s2, v[1:2]
	s_add_i32 s16, s16, 1
	s_delay_alu instid0(VALU_DEP_1) | instskip(NEXT) | instid1(VALU_DEP_1)
	v_ashrrev_i32_e32 v17, 31, v16
	v_lshlrev_b64 v[12:13], 2, v[16:17]
	v_lshlrev_b64 v[16:17], 4, v[16:17]
	s_delay_alu instid0(VALU_DEP_2) | instskip(NEXT) | instid1(VALU_DEP_3)
	v_add_co_u32 v12, vcc_lo, s4, v12
	v_add_co_ci_u32_e32 v13, vcc_lo, s5, v13, vcc_lo
	s_delay_alu instid0(VALU_DEP_3) | instskip(NEXT) | instid1(VALU_DEP_4)
	v_add_co_u32 v16, vcc_lo, s6, v16
	v_add_co_ci_u32_e32 v17, vcc_lo, s7, v17, vcc_lo
	s_waitcnt vmcnt(0)
	global_store_b32 v[12:13], v5, off
	global_load_b128 v[12:15], v[6:7], off
	v_mov_b32_e32 v5, v4
	s_waitcnt vmcnt(0)
	global_store_b128 v[16:17], v[12:15], off
	s_branch .LBB6_6
.LBB6_11:
	s_or_b32 exec_lo, exec_lo, s15
	v_sub_nc_u32_e32 v7, v10, v2
	s_waitcnt lgkmcnt(0)
	s_delay_alu instid0(VALU_DEP_1)
	v_cmp_gt_i32_e32 vcc_lo, s14, v7
	s_and_b32 exec_lo, exec_lo, vcc_lo
	s_cbranch_execz .LBB6_14
; %bb.12:
	v_mul_lo_u32 v4, s2, v7
	v_dual_mov_b32 v1, 0 :: v_dual_mov_b32 v8, -1
	s_mov_b32 s1, 0
	s_delay_alu instid0(VALU_DEP_1) | instskip(SKIP_1) | instid1(VALU_DEP_4)
	v_mov_b32_e32 v2, v1
	v_mov_b32_e32 v3, v1
	v_add3_u32 v5, v0, v4, s3
	v_mov_b32_e32 v4, v1
	.p2align	6
.LBB6_13:                               ; =>This Inner Loop Header: Depth=1
	s_delay_alu instid0(VALU_DEP_2) | instskip(SKIP_1) | instid1(VALU_DEP_2)
	v_ashrrev_i32_e32 v6, 31, v5
	v_add_nc_u32_e32 v7, 1, v7
	v_lshlrev_b64 v[9:10], 2, v[5:6]
	v_lshlrev_b64 v[11:12], 4, v[5:6]
	s_delay_alu instid0(VALU_DEP_3) | instskip(SKIP_1) | instid1(VALU_DEP_4)
	v_cmp_le_i32_e32 vcc_lo, s14, v7
	v_add_nc_u32_e32 v5, s2, v5
	v_add_co_u32 v9, s0, s4, v9
	s_delay_alu instid0(VALU_DEP_1) | instskip(SKIP_1) | instid1(VALU_DEP_1)
	v_add_co_ci_u32_e64 v10, s0, s5, v10, s0
	v_add_co_u32 v11, s0, s6, v11
	v_add_co_ci_u32_e64 v12, s0, s7, v12, s0
	s_or_b32 s1, vcc_lo, s1
	global_store_b32 v[9:10], v8, off
	global_store_b128 v[11:12], v[1:4], off
	s_and_not1_b32 exec_lo, exec_lo, s1
	s_cbranch_execnz .LBB6_13
.LBB6_14:
	s_nop 0
	s_sendmsg sendmsg(MSG_DEALLOC_VGPRS)
	s_endpgm
	.section	.rodata,"a",@progbits
	.p2align	6, 0x0
	.amdhsa_kernel _ZN9rocsparseL14csr2hyb_kernelILj512E21rocsparse_complex_numIdEEEviPKT0_PKiS7_iPiPS3_S8_S8_S9_S8_21rocsparse_index_base_
		.amdhsa_group_segment_fixed_size 0
		.amdhsa_private_segment_fixed_size 0
		.amdhsa_kernarg_size 92
		.amdhsa_user_sgpr_count 15
		.amdhsa_user_sgpr_dispatch_ptr 0
		.amdhsa_user_sgpr_queue_ptr 0
		.amdhsa_user_sgpr_kernarg_segment_ptr 1
		.amdhsa_user_sgpr_dispatch_id 0
		.amdhsa_user_sgpr_private_segment_size 0
		.amdhsa_wavefront_size32 1
		.amdhsa_uses_dynamic_stack 0
		.amdhsa_enable_private_segment 0
		.amdhsa_system_sgpr_workgroup_id_x 1
		.amdhsa_system_sgpr_workgroup_id_y 0
		.amdhsa_system_sgpr_workgroup_id_z 0
		.amdhsa_system_sgpr_workgroup_info 0
		.amdhsa_system_vgpr_workitem_id 0
		.amdhsa_next_free_vgpr 18
		.amdhsa_next_free_sgpr 20
		.amdhsa_reserve_vcc 1
		.amdhsa_float_round_mode_32 0
		.amdhsa_float_round_mode_16_64 0
		.amdhsa_float_denorm_mode_32 3
		.amdhsa_float_denorm_mode_16_64 3
		.amdhsa_dx10_clamp 1
		.amdhsa_ieee_mode 1
		.amdhsa_fp16_overflow 0
		.amdhsa_workgroup_processor_mode 1
		.amdhsa_memory_ordered 1
		.amdhsa_forward_progress 0
		.amdhsa_shared_vgpr_count 0
		.amdhsa_exception_fp_ieee_invalid_op 0
		.amdhsa_exception_fp_denorm_src 0
		.amdhsa_exception_fp_ieee_div_zero 0
		.amdhsa_exception_fp_ieee_overflow 0
		.amdhsa_exception_fp_ieee_underflow 0
		.amdhsa_exception_fp_ieee_inexact 0
		.amdhsa_exception_int_div_zero 0
	.end_amdhsa_kernel
	.section	.text._ZN9rocsparseL14csr2hyb_kernelILj512E21rocsparse_complex_numIdEEEviPKT0_PKiS7_iPiPS3_S8_S8_S9_S8_21rocsparse_index_base_,"axG",@progbits,_ZN9rocsparseL14csr2hyb_kernelILj512E21rocsparse_complex_numIdEEEviPKT0_PKiS7_iPiPS3_S8_S8_S9_S8_21rocsparse_index_base_,comdat
.Lfunc_end6:
	.size	_ZN9rocsparseL14csr2hyb_kernelILj512E21rocsparse_complex_numIdEEEviPKT0_PKiS7_iPiPS3_S8_S8_S9_S8_21rocsparse_index_base_, .Lfunc_end6-_ZN9rocsparseL14csr2hyb_kernelILj512E21rocsparse_complex_numIdEEEviPKT0_PKiS7_iPiPS3_S8_S8_S9_S8_21rocsparse_index_base_
                                        ; -- End function
	.section	.AMDGPU.csdata,"",@progbits
; Kernel info:
; codeLenInByte = 784
; NumSgprs: 22
; NumVgprs: 18
; ScratchSize: 0
; MemoryBound: 0
; FloatMode: 240
; IeeeMode: 1
; LDSByteSize: 0 bytes/workgroup (compile time only)
; SGPRBlocks: 2
; VGPRBlocks: 2
; NumSGPRsForWavesPerEU: 22
; NumVGPRsForWavesPerEU: 18
; Occupancy: 16
; WaveLimiterHint : 0
; COMPUTE_PGM_RSRC2:SCRATCH_EN: 0
; COMPUTE_PGM_RSRC2:USER_SGPR: 15
; COMPUTE_PGM_RSRC2:TRAP_HANDLER: 0
; COMPUTE_PGM_RSRC2:TGID_X_EN: 1
; COMPUTE_PGM_RSRC2:TGID_Y_EN: 0
; COMPUTE_PGM_RSRC2:TGID_Z_EN: 0
; COMPUTE_PGM_RSRC2:TIDIG_COMP_CNT: 0
	.text
	.p2alignl 7, 3214868480
	.fill 96, 4, 3214868480
	.type	__hip_cuid_1936f641ac11f580,@object ; @__hip_cuid_1936f641ac11f580
	.section	.bss,"aw",@nobits
	.globl	__hip_cuid_1936f641ac11f580
__hip_cuid_1936f641ac11f580:
	.byte	0                               ; 0x0
	.size	__hip_cuid_1936f641ac11f580, 1

	.ident	"AMD clang version 19.0.0git (https://github.com/RadeonOpenCompute/llvm-project roc-6.4.0 25133 c7fe45cf4b819c5991fe208aaa96edf142730f1d)"
	.section	".note.GNU-stack","",@progbits
	.addrsig
	.addrsig_sym __hip_cuid_1936f641ac11f580
	.amdgpu_metadata
---
amdhsa.kernels:
  - .args:
      - .offset:         0
        .size:           4
        .value_kind:     by_value
      - .address_space:  global
        .offset:         8
        .size:           8
        .value_kind:     global_buffer
      - .address_space:  global
        .offset:         16
        .size:           8
        .value_kind:     global_buffer
      - .offset:         24
        .size:           4
        .value_kind:     hidden_block_count_x
      - .offset:         28
        .size:           4
        .value_kind:     hidden_block_count_y
      - .offset:         32
        .size:           4
        .value_kind:     hidden_block_count_z
      - .offset:         36
        .size:           2
        .value_kind:     hidden_group_size_x
      - .offset:         38
        .size:           2
        .value_kind:     hidden_group_size_y
      - .offset:         40
        .size:           2
        .value_kind:     hidden_group_size_z
      - .offset:         42
        .size:           2
        .value_kind:     hidden_remainder_x
      - .offset:         44
        .size:           2
        .value_kind:     hidden_remainder_y
      - .offset:         46
        .size:           2
        .value_kind:     hidden_remainder_z
      - .offset:         64
        .size:           8
        .value_kind:     hidden_global_offset_x
      - .offset:         72
        .size:           8
        .value_kind:     hidden_global_offset_y
      - .offset:         80
        .size:           8
        .value_kind:     hidden_global_offset_z
      - .offset:         88
        .size:           2
        .value_kind:     hidden_grid_dims
    .group_segment_fixed_size: 2048
    .kernarg_segment_align: 8
    .kernarg_segment_size: 280
    .language:       OpenCL C
    .language_version:
      - 2
      - 0
    .max_flat_workgroup_size: 512
    .name:           _ZN9rocsparseL22ell_width_kernel_part1ILj512EiiEEvT1_PKT0_PS1_
    .private_segment_fixed_size: 0
    .sgpr_count:     18
    .sgpr_spill_count: 0
    .symbol:         _ZN9rocsparseL22ell_width_kernel_part1ILj512EiiEEvT1_PKT0_PS1_.kd
    .uniform_work_group_size: 1
    .uses_dynamic_stack: false
    .vgpr_count:     7
    .vgpr_spill_count: 0
    .wavefront_size: 32
    .workgroup_processor_mode: 1
  - .args:
      - .offset:         0
        .size:           4
        .value_kind:     by_value
      - .address_space:  global
        .offset:         8
        .size:           8
        .value_kind:     global_buffer
    .group_segment_fixed_size: 2048
    .kernarg_segment_align: 8
    .kernarg_segment_size: 16
    .language:       OpenCL C
    .language_version:
      - 2
      - 0
    .max_flat_workgroup_size: 512
    .name:           _ZN9rocsparseL22ell_width_kernel_part2ILj512EiEEvT0_PS1_
    .private_segment_fixed_size: 0
    .sgpr_count:     8
    .sgpr_spill_count: 0
    .symbol:         _ZN9rocsparseL22ell_width_kernel_part2ILj512EiEEvT0_PS1_.kd
    .uniform_work_group_size: 1
    .uses_dynamic_stack: false
    .vgpr_count:     7
    .vgpr_spill_count: 0
    .wavefront_size: 32
    .workgroup_processor_mode: 1
  - .args:
      - .offset:         0
        .size:           4
        .value_kind:     by_value
      - .offset:         4
        .size:           4
        .value_kind:     by_value
      - .address_space:  global
        .offset:         8
        .size:           8
        .value_kind:     global_buffer
      - .address_space:  global
        .offset:         16
        .size:           8
        .value_kind:     global_buffer
      - .offset:         24
        .size:           4
        .value_kind:     by_value
    .group_segment_fixed_size: 0
    .kernarg_segment_align: 8
    .kernarg_segment_size: 28
    .language:       OpenCL C
    .language_version:
      - 2
      - 0
    .max_flat_workgroup_size: 512
    .name:           _ZN9rocsparseL11hyb_coo_nnzILj512EEEviiPKiPi21rocsparse_index_base_
    .private_segment_fixed_size: 0
    .sgpr_count:     18
    .sgpr_spill_count: 0
    .symbol:         _ZN9rocsparseL11hyb_coo_nnzILj512EEEviiPKiPi21rocsparse_index_base_.kd
    .uniform_work_group_size: 1
    .uses_dynamic_stack: false
    .vgpr_count:     5
    .vgpr_spill_count: 0
    .wavefront_size: 32
    .workgroup_processor_mode: 1
  - .args:
      - .offset:         0
        .size:           4
        .value_kind:     by_value
      - .address_space:  global
        .offset:         8
        .size:           8
        .value_kind:     global_buffer
      - .address_space:  global
        .offset:         16
        .size:           8
        .value_kind:     global_buffer
      - .address_space:  global
        .offset:         24
        .size:           8
        .value_kind:     global_buffer
      - .offset:         32
        .size:           4
        .value_kind:     by_value
      - .address_space:  global
        .offset:         40
        .size:           8
        .value_kind:     global_buffer
      - .address_space:  global
        .offset:         48
        .size:           8
        .value_kind:     global_buffer
      - .address_space:  global
        .offset:         56
        .size:           8
        .value_kind:     global_buffer
      - .address_space:  global
        .offset:         64
        .size:           8
        .value_kind:     global_buffer
      - .address_space:  global
        .offset:         72
        .size:           8
        .value_kind:     global_buffer
      - .address_space:  global
        .offset:         80
        .size:           8
        .value_kind:     global_buffer
      - .offset:         88
        .size:           4
        .value_kind:     by_value
    .group_segment_fixed_size: 0
    .kernarg_segment_align: 8
    .kernarg_segment_size: 92
    .language:       OpenCL C
    .language_version:
      - 2
      - 0
    .max_flat_workgroup_size: 512
    .name:           _ZN9rocsparseL14csr2hyb_kernelILj512EfEEviPKT0_PKiS5_iPiPS1_S6_S6_S7_S6_21rocsparse_index_base_
    .private_segment_fixed_size: 0
    .sgpr_count:     22
    .sgpr_spill_count: 0
    .symbol:         _ZN9rocsparseL14csr2hyb_kernelILj512EfEEviPKT0_PKiS5_iPiPS1_S6_S6_S7_S6_21rocsparse_index_base_.kd
    .uniform_work_group_size: 1
    .uses_dynamic_stack: false
    .vgpr_count:     18
    .vgpr_spill_count: 0
    .wavefront_size: 32
    .workgroup_processor_mode: 1
  - .args:
      - .offset:         0
        .size:           4
        .value_kind:     by_value
      - .address_space:  global
        .offset:         8
        .size:           8
        .value_kind:     global_buffer
      - .address_space:  global
        .offset:         16
        .size:           8
        .value_kind:     global_buffer
      - .address_space:  global
        .offset:         24
        .size:           8
        .value_kind:     global_buffer
      - .offset:         32
        .size:           4
        .value_kind:     by_value
      - .address_space:  global
        .offset:         40
        .size:           8
        .value_kind:     global_buffer
      - .address_space:  global
        .offset:         48
        .size:           8
        .value_kind:     global_buffer
      - .address_space:  global
        .offset:         56
        .size:           8
        .value_kind:     global_buffer
      - .address_space:  global
        .offset:         64
        .size:           8
        .value_kind:     global_buffer
      - .address_space:  global
        .offset:         72
        .size:           8
        .value_kind:     global_buffer
      - .address_space:  global
        .offset:         80
        .size:           8
        .value_kind:     global_buffer
      - .offset:         88
        .size:           4
        .value_kind:     by_value
    .group_segment_fixed_size: 0
    .kernarg_segment_align: 8
    .kernarg_segment_size: 92
    .language:       OpenCL C
    .language_version:
      - 2
      - 0
    .max_flat_workgroup_size: 512
    .name:           _ZN9rocsparseL14csr2hyb_kernelILj512EdEEviPKT0_PKiS5_iPiPS1_S6_S6_S7_S6_21rocsparse_index_base_
    .private_segment_fixed_size: 0
    .sgpr_count:     22
    .sgpr_spill_count: 0
    .symbol:         _ZN9rocsparseL14csr2hyb_kernelILj512EdEEviPKT0_PKiS5_iPiPS1_S6_S6_S7_S6_21rocsparse_index_base_.kd
    .uniform_work_group_size: 1
    .uses_dynamic_stack: false
    .vgpr_count:     19
    .vgpr_spill_count: 0
    .wavefront_size: 32
    .workgroup_processor_mode: 1
  - .args:
      - .offset:         0
        .size:           4
        .value_kind:     by_value
      - .address_space:  global
        .offset:         8
        .size:           8
        .value_kind:     global_buffer
      - .address_space:  global
        .offset:         16
        .size:           8
        .value_kind:     global_buffer
      - .address_space:  global
        .offset:         24
        .size:           8
        .value_kind:     global_buffer
      - .offset:         32
        .size:           4
        .value_kind:     by_value
      - .address_space:  global
        .offset:         40
        .size:           8
        .value_kind:     global_buffer
      - .address_space:  global
        .offset:         48
        .size:           8
        .value_kind:     global_buffer
      - .address_space:  global
        .offset:         56
        .size:           8
        .value_kind:     global_buffer
      - .address_space:  global
        .offset:         64
        .size:           8
        .value_kind:     global_buffer
      - .address_space:  global
        .offset:         72
        .size:           8
        .value_kind:     global_buffer
      - .address_space:  global
        .offset:         80
        .size:           8
        .value_kind:     global_buffer
      - .offset:         88
        .size:           4
        .value_kind:     by_value
    .group_segment_fixed_size: 0
    .kernarg_segment_align: 8
    .kernarg_segment_size: 92
    .language:       OpenCL C
    .language_version:
      - 2
      - 0
    .max_flat_workgroup_size: 512
    .name:           _ZN9rocsparseL14csr2hyb_kernelILj512E21rocsparse_complex_numIfEEEviPKT0_PKiS7_iPiPS3_S8_S8_S9_S8_21rocsparse_index_base_
    .private_segment_fixed_size: 0
    .sgpr_count:     22
    .sgpr_spill_count: 0
    .symbol:         _ZN9rocsparseL14csr2hyb_kernelILj512E21rocsparse_complex_numIfEEEviPKT0_PKiS7_iPiPS3_S8_S8_S9_S8_21rocsparse_index_base_.kd
    .uniform_work_group_size: 1
    .uses_dynamic_stack: false
    .vgpr_count:     16
    .vgpr_spill_count: 0
    .wavefront_size: 32
    .workgroup_processor_mode: 1
  - .args:
      - .offset:         0
        .size:           4
        .value_kind:     by_value
      - .address_space:  global
        .offset:         8
        .size:           8
        .value_kind:     global_buffer
      - .address_space:  global
        .offset:         16
        .size:           8
        .value_kind:     global_buffer
      - .address_space:  global
        .offset:         24
        .size:           8
        .value_kind:     global_buffer
      - .offset:         32
        .size:           4
        .value_kind:     by_value
      - .address_space:  global
        .offset:         40
        .size:           8
        .value_kind:     global_buffer
      - .address_space:  global
        .offset:         48
        .size:           8
        .value_kind:     global_buffer
      - .address_space:  global
        .offset:         56
        .size:           8
        .value_kind:     global_buffer
      - .address_space:  global
        .offset:         64
        .size:           8
        .value_kind:     global_buffer
      - .address_space:  global
        .offset:         72
        .size:           8
        .value_kind:     global_buffer
      - .address_space:  global
        .offset:         80
        .size:           8
        .value_kind:     global_buffer
      - .offset:         88
        .size:           4
        .value_kind:     by_value
    .group_segment_fixed_size: 0
    .kernarg_segment_align: 8
    .kernarg_segment_size: 92
    .language:       OpenCL C
    .language_version:
      - 2
      - 0
    .max_flat_workgroup_size: 512
    .name:           _ZN9rocsparseL14csr2hyb_kernelILj512E21rocsparse_complex_numIdEEEviPKT0_PKiS7_iPiPS3_S8_S8_S9_S8_21rocsparse_index_base_
    .private_segment_fixed_size: 0
    .sgpr_count:     22
    .sgpr_spill_count: 0
    .symbol:         _ZN9rocsparseL14csr2hyb_kernelILj512E21rocsparse_complex_numIdEEEviPKT0_PKiS7_iPiPS3_S8_S8_S9_S8_21rocsparse_index_base_.kd
    .uniform_work_group_size: 1
    .uses_dynamic_stack: false
    .vgpr_count:     18
    .vgpr_spill_count: 0
    .wavefront_size: 32
    .workgroup_processor_mode: 1
amdhsa.target:   amdgcn-amd-amdhsa--gfx1100
amdhsa.version:
  - 1
  - 2
...

	.end_amdgpu_metadata
